;; amdgpu-corpus repo=ROCm/rocFFT kind=compiled arch=gfx1030 opt=O3
	.text
	.amdgcn_target "amdgcn-amd-amdhsa--gfx1030"
	.amdhsa_code_object_version 6
	.protected	bluestein_single_fwd_len2187_dim1_sp_op_CI_CI ; -- Begin function bluestein_single_fwd_len2187_dim1_sp_op_CI_CI
	.globl	bluestein_single_fwd_len2187_dim1_sp_op_CI_CI
	.p2align	8
	.type	bluestein_single_fwd_len2187_dim1_sp_op_CI_CI,@function
bluestein_single_fwd_len2187_dim1_sp_op_CI_CI: ; @bluestein_single_fwd_len2187_dim1_sp_op_CI_CI
; %bb.0:
	s_load_dwordx4 s[12:15], s[4:5], 0x28
	v_mul_u32_u24_e32 v1, 0x10e, v0
	v_mov_b32_e32 v87, 0
	s_mov_b32 s0, exec_lo
	v_lshrrev_b32_e32 v1, 16, v1
	v_add_nc_u32_e32 v86, s6, v1
	s_waitcnt lgkmcnt(0)
	v_cmpx_gt_u64_e64 s[12:13], v[86:87]
	s_cbranch_execz .LBB0_2
; %bb.1:
	s_clause 0x1
	s_load_dwordx4 s[0:3], s[4:5], 0x18
	s_load_dwordx4 s[8:11], s[4:5], 0x0
	v_mul_lo_u16 v1, 0xf3, v1
	v_mov_b32_e32 v56, 3
	v_sub_nc_u16 v0, v0, v1
	v_and_b32_e32 v88, 0xffff, v0
	v_lshlrev_b32_e32 v87, 3, v88
	v_add_co_u32 v58, null, 0xf3, v88
	s_waitcnt lgkmcnt(0)
	s_load_dwordx4 s[16:19], s[0:1], 0x0
	s_clause 0x1
	global_load_dwordx2 v[70:71], v87, s[8:9]
	global_load_dwordx2 v[68:69], v87, s[8:9] offset:1944
	v_add_co_u32 v93, s0, s8, v87
	v_add_co_ci_u32_e64 v94, null, s9, 0, s0
	v_add_co_u32 v57, null, 0x1e6, v88
	v_add_nc_u32_e32 v92, 0xf00, v87
	v_add_nc_u32_e32 v89, 0x1e00, v87
	;; [unrolled: 1-line block ×4, first 2 shown]
	s_waitcnt lgkmcnt(0)
	v_mad_u64_u32 v[1:2], null, s18, v86, 0
	v_mad_u64_u32 v[3:4], null, s16, v88, 0
	s_mul_i32 s0, s17, 0x16c8
	s_mul_hi_u32 s1, s16, 0x16c8
	s_mul_i32 s6, s16, 0x16c8
	s_add_i32 s1, s1, s0
	s_mul_i32 s0, s17, 0xffffda08
	v_mad_u64_u32 v[5:6], null, s19, v86, v[2:3]
	s_sub_i32 s0, s0, s16
	v_mad_u64_u32 v[6:7], null, s17, v88, v[4:5]
	v_mov_b32_e32 v2, v5
	v_add_co_u32 v7, vcc_lo, 0x1000, v93
	v_add_co_ci_u32_e32 v8, vcc_lo, 0, v94, vcc_lo
	v_lshlrev_b64 v[1:2], 3, v[1:2]
	v_mov_b32_e32 v4, v6
	v_add_co_u32 v5, vcc_lo, 0x2800, v93
	v_add_co_ci_u32_e32 v6, vcc_lo, 0, v94, vcc_lo
	v_lshlrev_b64 v[3:4], 3, v[3:4]
	v_add_co_u32 v1, vcc_lo, s14, v1
	v_add_co_ci_u32_e32 v2, vcc_lo, s15, v2, vcc_lo
	global_load_dwordx2 v[72:73], v[7:8], off offset:1736
	v_add_co_u32 v1, vcc_lo, v1, v3
	v_add_co_ci_u32_e32 v2, vcc_lo, v2, v4, vcc_lo
	v_add_co_u32 v3, vcc_lo, v1, s6
	v_add_co_ci_u32_e32 v4, vcc_lo, s1, v2, vcc_lo
	;; [unrolled: 2-line block ×5, first 2 shown]
	v_mad_u64_u32 v[15:16], null, 0xffffda08, s16, v[11:12]
	v_add_co_u32 v17, vcc_lo, 0x800, v93
	v_add_co_ci_u32_e32 v18, vcc_lo, 0, v94, vcc_lo
	s_clause 0x1
	global_load_dwordx2 v[7:8], v[1:2], off
	global_load_dwordx2 v[3:4], v[3:4], off
	v_add_nc_u32_e32 v16, s0, v16
	v_add_co_u32 v1, vcc_lo, v15, s6
	global_load_dwordx2 v[74:75], v[5:6], off offset:1424
	global_load_dwordx2 v[5:6], v[11:12], off
	v_add_co_ci_u32_e32 v2, vcc_lo, s1, v16, vcc_lo
	v_add_co_u32 v19, vcc_lo, v1, s6
	global_load_dwordx2 v[15:16], v[15:16], off
	s_clause 0x2
	global_load_dwordx2 v[80:81], v[9:10], off offset:1632
	global_load_dwordx2 v[78:79], v[13:14], off offset:1320
	global_load_dwordx2 v[76:77], v[17:18], off offset:1840
	global_load_dwordx2 v[9:10], v[1:2], off
	v_add_co_ci_u32_e32 v20, vcc_lo, s1, v2, vcc_lo
	v_add_co_u32 v21, vcc_lo, 0x2000, v93
	v_add_co_ci_u32_e32 v22, vcc_lo, 0, v94, vcc_lo
	v_mad_u64_u32 v[11:12], null, 0xffffda08, s16, v[19:20]
	v_add_co_u32 v23, vcc_lo, 0x3800, v93
	v_add_co_ci_u32_e32 v24, vcc_lo, 0, v94, vcc_lo
	global_load_dwordx2 v[13:14], v[19:20], off
	v_add_nc_u32_e32 v12, s0, v12
	v_add_co_u32 v1, vcc_lo, v11, s6
	v_add_co_ci_u32_e32 v2, vcc_lo, s1, v12, vcc_lo
	global_load_dwordx2 v[11:12], v[11:12], off
	v_add_co_u32 v17, vcc_lo, v1, s6
	v_add_co_ci_u32_e32 v18, vcc_lo, s1, v2, vcc_lo
	global_load_dwordx2 v[82:83], v[21:22], off offset:1528
	global_load_dwordx2 v[19:20], v[1:2], off
	global_load_dwordx2 v[84:85], v[23:24], off offset:1216
	global_load_dwordx2 v[17:18], v[17:18], off
	v_mul_lo_u16 v2, v0, 3
	v_and_b32_e32 v1, 0xff, v0
	v_mov_b32_e32 v21, 0xaaab
	s_load_dwordx4 s[0:3], s[2:3], 0x0
	v_lshlrev_b32_sdwa v95, v56, v2 dst_sel:DWORD dst_unused:UNUSED_PAD src0_sel:DWORD src1_sel:WORD_0
	v_mul_lo_u16 v2, 0xab, v1
	v_mul_u32_u24_sdwa v22, v58, v21 dst_sel:DWORD dst_unused:UNUSED_PAD src0_sel:WORD_0 src1_sel:DWORD
	v_lshrrev_b16 v24, 9, v2
	v_mul_u32_u24_sdwa v2, v57, v21 dst_sel:DWORD dst_unused:UNUSED_PAD src0_sel:WORD_0 src1_sel:DWORD
	v_lshrrev_b32_e32 v25, 17, v22
	v_mul_lo_u16 v23, v24, 3
	v_lshrrev_b32_e32 v26, 17, v2
	v_mul_lo_u16 v28, v25, 3
	s_waitcnt vmcnt(14)
	v_mul_f32_e32 v2, v8, v71
	s_waitcnt vmcnt(13)
	v_mul_f32_e32 v21, v4, v73
	v_mul_f32_e32 v22, v3, v73
	;; [unrolled: 1-line block ×3, first 2 shown]
	v_fmac_f32_e32 v2, v7, v70
	v_fmac_f32_e32 v21, v3, v72
	v_fma_f32 v22, v4, v72, -v22
	s_waitcnt vmcnt(10)
	v_mul_f32_e32 v7, v16, v69
	v_fma_f32 v3, v8, v70, -v27
	v_mul_f32_e32 v4, v6, v75
	v_mul_f32_e32 v8, v5, v75
	ds_write_b64 v87, v[21:22] offset:5832
	v_mul_f32_e32 v21, v15, v69
	v_fmac_f32_e32 v7, v15, v68
	s_waitcnt vmcnt(6)
	v_mul_f32_e32 v15, v10, v81
	v_fmac_f32_e32 v4, v5, v74
	v_fma_f32 v5, v6, v74, -v8
	v_mul_f32_e32 v6, v9, v81
	v_fma_f32 v8, v16, v68, -v21
	v_fmac_f32_e32 v15, v9, v80
	v_fma_f32 v16, v10, v80, -v6
	s_waitcnt vmcnt(5)
	v_mul_f32_e32 v22, v13, v79
	v_mul_f32_e32 v21, v14, v79
	v_fma_f32 v22, v14, v78, -v22
	v_fmac_f32_e32 v21, v13, v78
	s_waitcnt vmcnt(4)
	v_mul_f32_e32 v9, v12, v77
	v_mul_f32_e32 v6, v11, v77
	s_waitcnt vmcnt(2)
	v_mul_f32_e32 v14, v19, v83
	v_fmac_f32_e32 v9, v11, v76
	v_mul_f32_e32 v11, v20, v83
	s_waitcnt vmcnt(0)
	v_mul_f32_e32 v13, v18, v85
	v_mul_f32_e32 v27, v17, v85
	v_fma_f32 v10, v12, v76, -v6
	v_fma_f32 v12, v20, v82, -v14
	v_fmac_f32_e32 v11, v19, v82
	v_fmac_f32_e32 v13, v17, v84
	v_fma_f32 v14, v18, v84, -v27
	v_mul_u32_u24_e32 v18, 3, v58
	v_sub_nc_u16 v19, v0, v23
	ds_write_b64 v87, v[4:5] offset:11664
	ds_write2_b64 v87, v[2:3], v[7:8] offset1:243
	ds_write_b64 v87, v[9:10] offset:3888
	ds_write2_b64 v89, v[15:16], v[11:12] offset0:12 offset1:255
	ds_write2_b64 v90, v[21:22], v[13:14] offset0:5 offset1:248
	s_waitcnt lgkmcnt(0)
	s_barrier
	buffer_gl0_inv
	ds_read2_b64 v[2:5], v87 offset1:243
	ds_read2_b64 v[6:9], v92 offset0:6 offset1:249
	ds_read2_b64 v[10:13], v91 offset0:2 offset1:245
	;; [unrolled: 1-line block ×3, first 2 shown]
	v_sub_nc_u16 v27, v58, v28
	v_lshlrev_b32_e32 v96, 3, v18
	v_and_b32_e32 v28, 0xff, v19
	ds_read_b64 v[18:19], v87 offset:15552
	v_mul_lo_u16 v20, v26, 3
	v_mul_u32_u24_e32 v21, 3, v57
	s_waitcnt lgkmcnt(0)
	s_barrier
	buffer_gl0_inv
	v_sub_nc_u16 v29, v57, v20
	v_lshlrev_b16 v20, 1, v27
	v_lshlrev_b32_e32 v97, 3, v21
	v_lshlrev_b32_e32 v21, 4, v28
	v_lshlrev_b16 v22, 1, v29
	v_lshlrev_b32_sdwa v20, v56, v20 dst_sel:DWORD dst_unused:UNUSED_PAD src0_sel:DWORD src1_sel:WORD_0
	v_add_f32_e32 v23, v2, v8
	v_add_f32_e32 v30, v8, v10
	;; [unrolled: 1-line block ×4, first 2 shown]
	v_sub_f32_e32 v37, v15, v13
	v_add_f32_e32 v38, v5, v15
	v_add_f32_e32 v15, v15, v13
	;; [unrolled: 1-line block ×3, first 2 shown]
	v_sub_f32_e32 v41, v17, v19
	v_add_f32_e32 v42, v7, v17
	v_add_f32_e32 v17, v17, v19
	v_sub_f32_e32 v31, v9, v11
	v_add_f32_e32 v32, v3, v9
	v_sub_f32_e32 v34, v8, v10
	;; [unrolled: 2-line block ×3, first 2 shown]
	v_add_f32_e32 v14, v6, v16
	v_fma_f32 v2, -0.5, v30, v2
	v_fma_f32 v3, -0.5, v33, v3
	;; [unrolled: 1-line block ×3, first 2 shown]
	v_fmac_f32_e32 v5, -0.5, v15
	v_sub_f32_e32 v43, v16, v18
	v_fma_f32 v6, -0.5, v40, v6
	v_fmac_f32_e32 v7, -0.5, v17
	v_add_f32_e32 v8, v23, v10
	v_add_f32_e32 v9, v32, v11
	;; [unrolled: 1-line block ×4, first 2 shown]
	v_fmamk_f32 v14, v31, 0x3f5db3d7, v2
	v_fmamk_f32 v15, v34, 0xbf5db3d7, v3
	v_fmac_f32_e32 v2, 0xbf5db3d7, v31
	v_fmac_f32_e32 v3, 0x3f5db3d7, v34
	v_add_f32_e32 v11, v38, v13
	v_fmamk_f32 v16, v37, 0x3f5db3d7, v4
	v_fmamk_f32 v17, v39, 0xbf5db3d7, v5
	v_fmac_f32_e32 v4, 0xbf5db3d7, v37
	v_fmac_f32_e32 v5, 0x3f5db3d7, v39
	v_add_f32_e32 v13, v42, v19
	v_fmamk_f32 v18, v41, 0x3f5db3d7, v6
	v_fmamk_f32 v19, v43, 0xbf5db3d7, v7
	v_fmac_f32_e32 v6, 0xbf5db3d7, v41
	v_fmac_f32_e32 v7, 0x3f5db3d7, v43
	ds_write2_b64 v95, v[8:9], v[14:15] offset1:1
	ds_write_b64 v95, v[2:3] offset:16
	ds_write2_b64 v96, v[10:11], v[16:17] offset1:1
	ds_write_b64 v96, v[4:5] offset:16
	;; [unrolled: 2-line block ×3, first 2 shown]
	v_lshlrev_b32_sdwa v2, v56, v22 dst_sel:DWORD dst_unused:UNUSED_PAD src0_sel:DWORD src1_sel:WORD_0
	s_waitcnt lgkmcnt(0)
	s_barrier
	buffer_gl0_inv
	s_clause 0x2
	global_load_dwordx4 v[12:15], v21, s[10:11]
	global_load_dwordx4 v[16:19], v20, s[10:11]
	;; [unrolled: 1-line block ×3, first 2 shown]
	v_mov_b32_e32 v2, 0xe38f
	v_mul_lo_u16 v3, v1, 57
	v_mad_u16 v10, v25, 9, v27
	v_mad_u16 v11, v26, 9, v29
	ds_read2_b64 v[6:9], v89 offset0:12 offset1:255
	v_mul_u32_u24_sdwa v4, v58, v2 dst_sel:DWORD dst_unused:UNUSED_PAD src0_sel:WORD_0 src1_sel:DWORD
	v_lshrrev_b16 v36, 9, v3
	v_mul_u32_u24_sdwa v2, v57, v2 dst_sel:DWORD dst_unused:UNUSED_PAD src0_sel:WORD_0 src1_sel:DWORD
	v_lshlrev_b32_sdwa v99, v56, v10 dst_sel:DWORD dst_unused:UNUSED_PAD src0_sel:DWORD src1_sel:WORD_0
	v_lshlrev_b32_sdwa v100, v56, v11 dst_sel:DWORD dst_unused:UNUSED_PAD src0_sel:DWORD src1_sel:WORD_0
	v_lshrrev_b32_e32 v37, 19, v4
	v_mul_lo_u16 v3, v36, 9
	v_lshrrev_b32_e32 v38, 19, v2
	v_mov_b32_e32 v2, 9
	ds_read_b64 v[10:11], v87 offset:15552
	v_mul_lo_u16 v4, v37, 9
	v_sub_nc_u16 v3, v0, v3
	v_mul_lo_u16 v5, v38, 9
	v_mul_u32_u24_sdwa v2, v24, v2 dst_sel:DWORD dst_unused:UNUSED_PAD src0_sel:WORD_0 src1_sel:DWORD
	v_sub_nc_u16 v39, v58, v4
	v_and_b32_e32 v40, 0xff, v3
	v_sub_nc_u16 v41, v57, v5
	v_add_lshl_u32 v98, v2, v28, 3
	ds_read2_b64 v[2:5], v91 offset0:2 offset1:245
	v_lshlrev_b16 v24, 4, v39
	v_lshlrev_b32_e32 v34, 4, v40
	v_lshlrev_b16 v28, 4, v41
	v_and_b32_e32 v29, 0xffff, v24
	ds_read2_b64 v[24:27], v92 offset0:6 offset1:249
	v_and_b32_e32 v35, 0xffff, v28
	v_add_co_u32 v32, s6, s10, v29
	ds_read2_b64 v[28:31], v87 offset1:243
	v_add_co_ci_u32_e64 v33, null, s11, 0, s6
	s_waitcnt vmcnt(0) lgkmcnt(0)
	s_barrier
	buffer_gl0_inv
	v_mul_f32_e32 v42, v3, v15
	v_mul_f32_e32 v43, v2, v15
	;; [unrolled: 1-line block ×12, first 2 shown]
	v_fma_f32 v2, v2, v14, -v42
	v_fmac_f32_e32 v43, v3, v14
	v_fmac_f32_e32 v45, v5, v18
	v_fmac_f32_e32 v51, v27, v12
	v_fma_f32 v5, v26, v12, -v50
	v_fma_f32 v42, v4, v18, -v44
	v_fma_f32 v3, v6, v16, -v46
	v_fmac_f32_e32 v47, v7, v16
	v_fma_f32 v4, v8, v20, -v48
	v_fmac_f32_e32 v49, v9, v20
	v_fma_f32 v8, v10, v22, -v52
	v_fmac_f32_e32 v53, v11, v22
	v_add_f32_e32 v7, v51, v43
	v_add_f32_e32 v10, v5, v2
	;; [unrolled: 1-line block ×5, first 2 shown]
	v_sub_f32_e32 v26, v51, v43
	v_add_f32_e32 v51, v25, v49
	v_sub_f32_e32 v52, v49, v53
	v_add_f32_e32 v49, v49, v53
	v_add_f32_e32 v55, v4, v8
	;; [unrolled: 1-line block ×3, first 2 shown]
	v_sub_f32_e32 v27, v5, v2
	v_add_f32_e32 v11, v31, v47
	v_add_f32_e32 v54, v24, v4
	v_sub_f32_e32 v59, v4, v8
	v_fma_f32 v4, -0.5, v10, v28
	v_fma_f32 v5, -0.5, v7, v29
	v_sub_f32_e32 v44, v47, v45
	v_add_f32_e32 v47, v30, v3
	v_sub_f32_e32 v50, v3, v42
	v_fma_f32 v30, -0.5, v48, v30
	v_fmac_f32_e32 v31, -0.5, v46
	v_fma_f32 v24, -0.5, v55, v24
	v_fmac_f32_e32 v25, -0.5, v49
	v_add_f32_e32 v3, v6, v43
	v_add_f32_e32 v2, v9, v2
	;; [unrolled: 1-line block ×3, first 2 shown]
	v_fmamk_f32 v10, v26, 0x3f5db3d7, v4
	v_fmamk_f32 v11, v27, 0xbf5db3d7, v5
	v_fmac_f32_e32 v4, 0xbf5db3d7, v26
	v_fmac_f32_e32 v5, 0x3f5db3d7, v27
	v_add_f32_e32 v6, v47, v42
	v_fmamk_f32 v26, v44, 0x3f5db3d7, v30
	v_fmamk_f32 v27, v50, 0xbf5db3d7, v31
	v_fmac_f32_e32 v30, 0xbf5db3d7, v44
	v_fmac_f32_e32 v31, 0x3f5db3d7, v50
	v_add_f32_e32 v9, v51, v53
	v_add_f32_e32 v8, v54, v8
	v_fmamk_f32 v28, v52, 0x3f5db3d7, v24
	v_fmamk_f32 v29, v59, 0xbf5db3d7, v25
	v_fmac_f32_e32 v24, 0xbf5db3d7, v52
	v_fmac_f32_e32 v25, 0x3f5db3d7, v59
	ds_write2_b64 v98, v[2:3], v[10:11] offset1:3
	ds_write_b64 v98, v[4:5] offset:48
	ds_write2_b64 v99, v[6:7], v[26:27] offset1:3
	ds_write_b64 v99, v[30:31] offset:48
	;; [unrolled: 2-line block ×3, first 2 shown]
	v_add_co_u32 v2, s6, s10, v35
	v_add_co_ci_u32_e64 v3, null, s11, 0, s6
	s_waitcnt lgkmcnt(0)
	s_barrier
	buffer_gl0_inv
	s_clause 0x2
	global_load_dwordx4 v[24:27], v34, s[10:11] offset:48
	global_load_dwordx4 v[28:31], v[32:33], off offset:48
	global_load_dwordx4 v[32:35], v[2:3], off offset:48
	v_mov_b32_e32 v2, 0x2f69
	v_mul_lo_u16 v5, v1, 19
	v_mad_u16 v10, v37, 27, v39
	v_mad_u16 v11, v38, 27, v41
	v_mul_lo_u16 v1, 0xcb, v1
	v_mul_u32_u24_sdwa v3, v58, v2 dst_sel:DWORD dst_unused:UNUSED_PAD src0_sel:WORD_0 src1_sel:DWORD
	v_mul_u32_u24_sdwa v2, v57, v2 dst_sel:DWORD dst_unused:UNUSED_PAD src0_sel:WORD_0 src1_sel:DWORD
	v_lshrrev_b16 v48, 9, v5
	v_lshlrev_b32_sdwa v105, v56, v10 dst_sel:DWORD dst_unused:UNUSED_PAD src0_sel:DWORD src1_sel:WORD_0
	v_lshlrev_b32_sdwa v106, v56, v11 dst_sel:DWORD dst_unused:UNUSED_PAD src0_sel:DWORD src1_sel:WORD_0
	v_lshrrev_b32_e32 v3, 16, v3
	v_lshrrev_b32_e32 v2, 16, v2
	ds_read_b64 v[10:11], v87 offset:15552
	v_sub_nc_u16 v4, v58, v3
	v_sub_nc_u16 v6, v57, v2
	v_lshrrev_b16 v4, 1, v4
	v_lshrrev_b16 v5, 1, v6
	v_mov_b32_e32 v6, 27
	v_add_nc_u16 v3, v4, v3
	v_add_nc_u16 v2, v5, v2
	v_mul_lo_u16 v4, v48, 27
	v_lshrrev_b16 v49, 4, v3
	v_lshrrev_b16 v50, 4, v2
	v_sub_nc_u16 v3, v0, v4
	v_mul_u32_u24_sdwa v4, v36, v6 dst_sel:DWORD dst_unused:UNUSED_PAD src0_sel:WORD_0 src1_sel:DWORD
	v_mul_lo_u16 v2, v49, 27
	v_mul_lo_u16 v6, v50, 27
	v_and_b32_e32 v51, 0xff, v3
	v_add_lshl_u32 v104, v4, v40, 3
	v_sub_nc_u16 v52, v58, v2
	ds_read2_b64 v[2:5], v91 offset0:2 offset1:245
	v_sub_nc_u16 v53, v57, v6
	ds_read2_b64 v[6:9], v89 offset0:12 offset1:255
	v_lshlrev_b32_e32 v46, 4, v51
	v_lshlrev_b16 v36, 4, v52
	v_mad_u16 v49, 0x51, v49, v52
	v_lshlrev_b16 v40, 4, v53
	v_mad_u16 v50, 0x51, v50, v53
	v_and_b32_e32 v41, 0xffff, v36
	ds_read2_b64 v[36:39], v92 offset0:6 offset1:249
	v_and_b32_e32 v47, 0xffff, v40
	v_lshlrev_b32_sdwa v109, v56, v49 dst_sel:DWORD dst_unused:UNUSED_PAD src0_sel:DWORD src1_sel:WORD_0
	v_lshlrev_b32_sdwa v108, v56, v50 dst_sel:DWORD dst_unused:UNUSED_PAD src0_sel:DWORD src1_sel:WORD_0
	v_add_co_u32 v44, s6, s10, v41
	ds_read2_b64 v[40:43], v87 offset1:243
	v_add_co_ci_u32_e64 v45, null, s11, 0, s6
	s_waitcnt vmcnt(0) lgkmcnt(0)
	s_barrier
	buffer_gl0_inv
	v_mul_f32_e32 v54, v3, v27
	v_mul_f32_e32 v55, v2, v27
	;; [unrolled: 1-line block ×12, first 2 shown]
	v_fma_f32 v2, v2, v26, -v54
	v_fmac_f32_e32 v55, v3, v26
	v_fmac_f32_e32 v60, v5, v30
	v_fmac_f32_e32 v66, v39, v24
	v_fma_f32 v5, v38, v24, -v65
	v_fma_f32 v54, v4, v30, -v59
	;; [unrolled: 1-line block ×3, first 2 shown]
	v_fmac_f32_e32 v62, v7, v28
	v_fma_f32 v4, v8, v32, -v63
	v_fmac_f32_e32 v64, v9, v32
	v_fma_f32 v8, v10, v34, -v67
	v_fmac_f32_e32 v101, v11, v34
	v_add_f32_e32 v7, v66, v55
	v_add_f32_e32 v10, v5, v2
	;; [unrolled: 1-line block ×5, first 2 shown]
	v_sub_f32_e32 v38, v66, v55
	v_add_f32_e32 v66, v37, v64
	v_sub_f32_e32 v67, v64, v101
	v_add_f32_e32 v64, v64, v101
	v_add_f32_e32 v103, v4, v8
	;; [unrolled: 1-line block ×3, first 2 shown]
	v_sub_f32_e32 v39, v5, v2
	v_add_f32_e32 v11, v43, v62
	v_add_f32_e32 v102, v36, v4
	v_sub_f32_e32 v107, v4, v8
	v_fma_f32 v4, -0.5, v10, v40
	v_fma_f32 v5, -0.5, v7, v41
	v_sub_f32_e32 v59, v62, v60
	v_add_f32_e32 v62, v42, v3
	v_sub_f32_e32 v65, v3, v54
	v_fma_f32 v42, -0.5, v63, v42
	v_fmac_f32_e32 v43, -0.5, v61
	v_fma_f32 v36, -0.5, v103, v36
	v_fmac_f32_e32 v37, -0.5, v64
	v_add_f32_e32 v3, v6, v55
	v_add_f32_e32 v2, v9, v2
	v_add_f32_e32 v7, v11, v60
	v_fmamk_f32 v10, v38, 0x3f5db3d7, v4
	v_fmamk_f32 v11, v39, 0xbf5db3d7, v5
	v_fmac_f32_e32 v4, 0xbf5db3d7, v38
	v_fmac_f32_e32 v5, 0x3f5db3d7, v39
	v_add_f32_e32 v6, v62, v54
	v_fmamk_f32 v38, v59, 0x3f5db3d7, v42
	v_fmamk_f32 v39, v65, 0xbf5db3d7, v43
	v_fmac_f32_e32 v42, 0xbf5db3d7, v59
	v_fmac_f32_e32 v43, 0x3f5db3d7, v65
	v_add_f32_e32 v9, v66, v101
	v_add_f32_e32 v8, v102, v8
	v_fmamk_f32 v40, v67, 0x3f5db3d7, v36
	v_fmamk_f32 v41, v107, 0xbf5db3d7, v37
	v_fmac_f32_e32 v36, 0xbf5db3d7, v67
	v_fmac_f32_e32 v37, 0x3f5db3d7, v107
	ds_write2_b64 v104, v[2:3], v[10:11] offset1:9
	ds_write_b64 v104, v[4:5] offset:144
	ds_write2_b64 v105, v[6:7], v[38:39] offset1:9
	ds_write_b64 v105, v[42:43] offset:144
	;; [unrolled: 2-line block ×3, first 2 shown]
	v_add_co_u32 v2, s6, s10, v47
	v_add_co_ci_u32_e64 v3, null, s11, 0, s6
	s_waitcnt lgkmcnt(0)
	s_barrier
	buffer_gl0_inv
	s_clause 0x2
	global_load_dwordx4 v[36:39], v46, s[10:11] offset:192
	global_load_dwordx4 v[40:43], v[44:45], off offset:192
	global_load_dwordx4 v[44:47], v[2:3], off offset:192
	v_mov_b32_e32 v2, 0x6523
	v_lshrrev_b16 v59, 14, v1
	v_mov_b32_e32 v4, 0x51
	v_mul_u32_u24_sdwa v3, v58, v2 dst_sel:DWORD dst_unused:UNUSED_PAD src0_sel:WORD_0 src1_sel:DWORD
	v_mul_u32_u24_sdwa v2, v57, v2 dst_sel:DWORD dst_unused:UNUSED_PAD src0_sel:WORD_0 src1_sel:DWORD
	v_mul_lo_u16 v1, 0x51, v59
	v_mul_u32_u24_sdwa v4, v48, v4 dst_sel:DWORD dst_unused:UNUSED_PAD src0_sel:WORD_0 src1_sel:DWORD
	v_lshrrev_b32_e32 v60, 21, v3
	v_lshrrev_b32_e32 v61, 21, v2
	v_sub_nc_u16 v0, v0, v1
	v_add_lshl_u32 v107, v4, v51, 3
	v_mul_lo_u16 v2, 0x51, v60
	v_mul_lo_u16 v3, 0x51, v61
	v_and_b32_e32 v64, 0xff, v0
	v_sub_nc_u16 v62, v58, v2
	v_sub_nc_u16 v63, v57, v3
	ds_read2_b64 v[0:3], v91 offset0:2 offset1:245
	v_lshlrev_b32_e32 v65, 4, v64
	v_lshlrev_b16 v5, 4, v62
	v_lshlrev_b16 v8, 4, v63
	v_mad_u16 v63, 0xf3, v61, v63
	v_and_b32_e32 v48, 0xffff, v5
	ds_read2_b64 v[4:7], v89 offset0:12 offset1:255
	v_and_b32_e32 v66, 0xffff, v8
	ds_read2_b64 v[8:11], v92 offset0:6 offset1:249
	ds_read_b64 v[52:53], v87 offset:15552
	v_add_co_u32 v54, s6, s10, v48
	ds_read2_b64 v[48:51], v87 offset1:243
	v_add_co_ci_u32_e64 v55, null, s11, 0, s6
	s_waitcnt vmcnt(0) lgkmcnt(0)
	s_barrier
	buffer_gl0_inv
	v_mul_f32_e32 v67, v1, v39
	v_mul_f32_e32 v101, v0, v39
	;; [unrolled: 1-line block ×12, first 2 shown]
	v_fma_f32 v0, v0, v38, -v67
	v_fmac_f32_e32 v101, v1, v38
	v_fma_f32 v1, v4, v40, -v110
	v_fmac_f32_e32 v111, v5, v40
	v_fmac_f32_e32 v115, v11, v36
	v_fma_f32 v4, v10, v36, -v114
	v_fma_f32 v2, v2, v42, -v102
	v_fmac_f32_e32 v103, v3, v42
	v_fma_f32 v3, v6, v44, -v112
	v_fmac_f32_e32 v113, v7, v44
	;; [unrolled: 2-line block ×3, first 2 shown]
	v_add_f32_e32 v5, v49, v115
	v_add_f32_e32 v7, v115, v101
	;; [unrolled: 1-line block ×4, first 2 shown]
	v_sub_f32_e32 v53, v4, v0
	v_add_f32_e32 v4, v51, v111
	v_sub_f32_e32 v67, v111, v103
	v_add_f32_e32 v102, v111, v103
	v_add_f32_e32 v111, v1, v2
	v_sub_f32_e32 v52, v115, v101
	v_add_f32_e32 v114, v9, v113
	v_sub_f32_e32 v115, v113, v117
	v_add_f32_e32 v113, v113, v117
	v_add_f32_e32 v118, v3, v6
	;; [unrolled: 1-line block ×3, first 2 shown]
	v_sub_f32_e32 v112, v1, v2
	v_add_f32_e32 v116, v8, v3
	v_sub_f32_e32 v119, v3, v6
	v_add_f32_e32 v1, v5, v101
	v_add_f32_e32 v3, v4, v103
	v_fma_f32 v4, -0.5, v11, v48
	v_fma_f32 v5, -0.5, v7, v49
	;; [unrolled: 1-line block ×3, first 2 shown]
	v_fmac_f32_e32 v51, -0.5, v102
	v_fma_f32 v8, -0.5, v118, v8
	v_fmac_f32_e32 v9, -0.5, v113
	v_add_f32_e32 v0, v10, v0
	v_fmamk_f32 v10, v52, 0x3f5db3d7, v4
	v_fmamk_f32 v11, v53, 0xbf5db3d7, v5
	v_fmac_f32_e32 v4, 0xbf5db3d7, v52
	v_fmac_f32_e32 v5, 0x3f5db3d7, v53
	v_add_f32_e32 v2, v110, v2
	v_fmamk_f32 v48, v67, 0x3f5db3d7, v50
	v_fmamk_f32 v49, v112, 0xbf5db3d7, v51
	v_fmac_f32_e32 v50, 0xbf5db3d7, v67
	v_fmac_f32_e32 v51, 0x3f5db3d7, v112
	v_add_f32_e32 v7, v114, v117
	v_add_f32_e32 v6, v116, v6
	v_fmamk_f32 v52, v115, 0x3f5db3d7, v8
	v_fmamk_f32 v53, v119, 0xbf5db3d7, v9
	v_fmac_f32_e32 v8, 0xbf5db3d7, v115
	v_fmac_f32_e32 v9, 0x3f5db3d7, v119
	ds_write2_b64 v107, v[0:1], v[10:11] offset1:27
	ds_write_b64 v107, v[4:5] offset:432
	ds_write2_b64 v109, v[2:3], v[48:49] offset1:27
	ds_write_b64 v109, v[50:51] offset:432
	ds_write2_b64 v108, v[6:7], v[52:53] offset1:27
	ds_write_b64 v108, v[8:9] offset:432
	v_add_co_u32 v8, s6, s10, v66
	v_add_co_ci_u32_e64 v9, null, s11, 0, s6
	s_waitcnt lgkmcnt(0)
	s_barrier
	buffer_gl0_inv
	s_clause 0x2
	global_load_dwordx4 v[0:3], v65, s[10:11] offset:624
	global_load_dwordx4 v[4:7], v[54:55], off offset:624
	global_load_dwordx4 v[8:11], v[8:9], off offset:624
	v_mov_b32_e32 v48, 0xdb3
	v_mov_b32_e32 v65, 0xf3
	v_mad_u16 v66, 0xf3, v60, v62
	ds_read_b64 v[110:111], v87 offset:15552
	v_lshlrev_b32_sdwa v101, v56, v63 dst_sel:DWORD dst_unused:UNUSED_PAD src0_sel:DWORD src1_sel:WORD_0
	v_mul_u32_u24_sdwa v48, v57, v48 dst_sel:DWORD dst_unused:UNUSED_PAD src0_sel:WORD_0 src1_sel:DWORD
	v_mul_u32_u24_sdwa v65, v59, v65 dst_sel:DWORD dst_unused:UNUSED_PAD src0_sel:WORD_0 src1_sel:DWORD
	ds_read2_b64 v[59:62], v92 offset0:6 offset1:249
	v_lshlrev_b32_sdwa v102, v56, v66 dst_sel:DWORD dst_unused:UNUSED_PAD src0_sel:DWORD src1_sel:WORD_0
	v_lshlrev_b32_e32 v113, 4, v88
	v_lshrrev_b32_e32 v48, 16, v48
	v_add_lshl_u32 v103, v65, v64, 3
	ds_read2_b64 v[63:66], v87 offset1:243
	v_sub_nc_u16 v49, v57, v48
	v_lshrrev_b16 v49, 1, v49
	v_add_nc_u16 v48, v49, v48
	v_lshrrev_b16 v48, 7, v48
	v_mul_lo_u16 v52, 0xf3, v48
	ds_read2_b64 v[48:51], v91 offset0:2 offset1:245
	v_sub_nc_u16 v67, v57, v52
	ds_read2_b64 v[52:55], v89 offset0:12 offset1:255
	s_waitcnt vmcnt(0) lgkmcnt(0)
	s_barrier
	buffer_gl0_inv
	v_lshlrev_b16 v112, 4, v67
	v_and_b32_e32 v112, 0xffff, v112
	v_mul_f32_e32 v114, v49, v3
	v_mul_f32_e32 v115, v48, v3
	;; [unrolled: 1-line block ×12, first 2 shown]
	v_fma_f32 v48, v48, v2, -v114
	v_fmac_f32_e32 v115, v49, v2
	v_fmac_f32_e32 v117, v51, v6
	v_fma_f32 v49, v52, v4, -v118
	v_fmac_f32_e32 v119, v53, v4
	v_fma_f32 v51, v54, v8, -v120
	;; [unrolled: 2-line block ×3, first 2 shown]
	v_fma_f32 v50, v50, v6, -v116
	v_fmac_f32_e32 v121, v55, v8
	v_fma_f32 v54, v110, v10, -v124
	v_fmac_f32_e32 v125, v111, v10
	v_add_f32_e32 v55, v63, v52
	v_add_f32_e32 v61, v122, v115
	;; [unrolled: 1-line block ×3, first 2 shown]
	v_sub_f32_e32 v111, v52, v48
	v_add_f32_e32 v52, v66, v119
	v_add_f32_e32 v124, v59, v51
	v_sub_f32_e32 v114, v119, v117
	v_add_f32_e32 v116, v119, v117
	v_add_f32_e32 v119, v49, v50
	;; [unrolled: 1-line block ×3, first 2 shown]
	v_sub_f32_e32 v62, v122, v115
	v_add_f32_e32 v122, v60, v121
	v_sub_f32_e32 v123, v121, v125
	v_add_f32_e32 v121, v121, v125
	v_add_f32_e32 v126, v51, v54
	v_sub_f32_e32 v127, v51, v54
	v_add_f32_e32 v48, v55, v48
	v_add_f32_e32 v51, v52, v117
	;; [unrolled: 1-line block ×3, first 2 shown]
	v_fma_f32 v54, -0.5, v110, v63
	v_fma_f32 v55, -0.5, v61, v64
	v_add_f32_e32 v118, v65, v49
	v_sub_f32_e32 v120, v49, v50
	v_fma_f32 v65, -0.5, v119, v65
	v_fmac_f32_e32 v66, -0.5, v116
	v_fma_f32 v59, -0.5, v126, v59
	v_fmac_f32_e32 v60, -0.5, v121
	v_add_f32_e32 v49, v53, v115
	v_fmamk_f32 v61, v62, 0x3f5db3d7, v54
	v_fmac_f32_e32 v54, 0xbf5db3d7, v62
	v_fmamk_f32 v62, v111, 0xbf5db3d7, v55
	v_fmac_f32_e32 v55, 0x3f5db3d7, v111
	v_add_f32_e32 v50, v118, v50
	v_fmamk_f32 v63, v114, 0x3f5db3d7, v65
	v_fmamk_f32 v64, v120, 0xbf5db3d7, v66
	v_fmac_f32_e32 v65, 0xbf5db3d7, v114
	v_fmac_f32_e32 v66, 0x3f5db3d7, v120
	v_add_f32_e32 v53, v122, v125
	v_fmamk_f32 v110, v123, 0x3f5db3d7, v59
	v_fmamk_f32 v111, v127, 0xbf5db3d7, v60
	v_fmac_f32_e32 v59, 0xbf5db3d7, v123
	v_fmac_f32_e32 v60, 0x3f5db3d7, v127
	ds_write2_b64 v103, v[48:49], v[61:62] offset1:81
	ds_write_b64 v103, v[54:55] offset:1296
	ds_write2_b64 v102, v[50:51], v[63:64] offset1:81
	ds_write_b64 v102, v[65:66] offset:1296
	;; [unrolled: 2-line block ×3, first 2 shown]
	v_add_co_u32 v52, s6, s10, v112
	v_add_co_ci_u32_e64 v53, null, s11, 0, s6
	s_waitcnt lgkmcnt(0)
	s_barrier
	buffer_gl0_inv
	s_clause 0x1
	global_load_dwordx4 v[48:51], v113, s[10:11] offset:1920
	global_load_dwordx4 v[52:55], v[52:53], off offset:1920
	v_lshlrev_b32_e32 v61, 4, v58
	v_add_co_u32 v58, s6, s10, v113
	v_add_co_ci_u32_e64 v59, null, s11, 0, s6
	v_lshlrev_b32_e32 v110, 4, v57
	v_add_co_u32 v65, vcc_lo, 0x1000, v58
	v_add_co_ci_u32_e32 v66, vcc_lo, 0, v59, vcc_lo
	ds_read2_b64 v[57:60], v91 offset0:2 offset1:245
	v_add_co_u32 v111, s6, s10, v61
	ds_read2_b64 v[61:64], v92 offset0:6 offset1:249
	ds_read2_b64 v[112:115], v89 offset0:12 offset1:255
	ds_read_b64 v[120:121], v87 offset:15552
	v_add_co_ci_u32_e64 v116, null, s11, 0, s6
	v_add_co_u32 v122, vcc_lo, 0x1000, v111
	v_add_co_u32 v124, s6, s10, v110
	v_add_co_ci_u32_e32 v123, vcc_lo, 0, v116, vcc_lo
	ds_read2_b64 v[116:119], v87 offset1:243
	v_lshlrev_b32_sdwa v110, v56, v67 dst_sel:DWORD dst_unused:UNUSED_PAD src0_sel:DWORD src1_sel:WORD_0
	v_add_co_ci_u32_e64 v125, null, s11, 0, s6
	s_waitcnt vmcnt(0) lgkmcnt(0)
	s_barrier
	v_add_nc_u32_e32 v111, 0x2d80, v110
	buffer_gl0_inv
	s_mul_hi_u32 s6, s0, 0x16c8
	v_mul_f32_e32 v56, v58, v51
	v_mul_f32_e32 v67, v57, v51
	;; [unrolled: 1-line block ×12, first 2 shown]
	v_fma_f32 v56, v57, v50, -v56
	v_fmac_f32_e32 v67, v58, v50
	v_fmac_f32_e32 v128, v64, v48
	v_fma_f32 v57, v63, v48, -v129
	v_fma_f32 v126, v59, v50, -v126
	v_fmac_f32_e32 v127, v60, v50
	v_fma_f32 v58, v112, v48, -v130
	v_fmac_f32_e32 v131, v113, v48
	;; [unrolled: 2-line block ×3, first 2 shown]
	v_fmac_f32_e32 v134, v121, v54
	v_fma_f32 v60, v120, v54, -v135
	v_add_f32_e32 v112, v128, v67
	v_add_f32_e32 v113, v57, v56
	;; [unrolled: 1-line block ×8, first 2 shown]
	v_sub_f32_e32 v120, v128, v67
	v_sub_f32_e32 v121, v57, v56
	v_add_f32_e32 v114, v118, v58
	v_add_f32_e32 v115, v119, v131
	v_sub_f32_e32 v128, v131, v127
	v_sub_f32_e32 v131, v58, v126
	v_add_f32_e32 v137, v61, v59
	v_sub_f32_e32 v138, v59, v60
	v_fma_f32 v58, -0.5, v113, v116
	v_fma_f32 v59, -0.5, v112, v117
	v_fma_f32 v118, -0.5, v130, v118
	v_fmac_f32_e32 v119, -0.5, v129
	v_add_f32_e32 v132, v62, v133
	v_sub_f32_e32 v133, v133, v134
	v_fma_f32 v61, -0.5, v135, v61
	v_fmac_f32_e32 v62, -0.5, v136
	v_add_f32_e32 v57, v63, v67
	v_add_f32_e32 v56, v64, v56
	;; [unrolled: 1-line block ×4, first 2 shown]
	v_fmamk_f32 v114, v120, 0x3f5db3d7, v58
	v_fmamk_f32 v115, v121, 0xbf5db3d7, v59
	v_fmac_f32_e32 v58, 0xbf5db3d7, v120
	v_fmac_f32_e32 v59, 0x3f5db3d7, v121
	v_fmamk_f32 v116, v128, 0x3f5db3d7, v118
	v_fmac_f32_e32 v118, 0xbf5db3d7, v128
	v_fmamk_f32 v117, v131, 0xbf5db3d7, v119
	v_fmac_f32_e32 v119, 0x3f5db3d7, v131
	v_add_f32_e32 v113, v132, v134
	v_add_f32_e32 v112, v137, v60
	v_fmamk_f32 v120, v133, 0x3f5db3d7, v61
	v_fmamk_f32 v121, v138, 0xbf5db3d7, v62
	v_fmac_f32_e32 v61, 0xbf5db3d7, v133
	v_fmac_f32_e32 v62, 0x3f5db3d7, v138
	ds_write2_b64 v87, v[56:57], v[114:115] offset1:243
	ds_write2_b64 v92, v[58:59], v[63:64] offset0:6 offset1:249
	ds_write2_b64 v89, v[116:117], v[118:119] offset0:12 offset1:255
	;; [unrolled: 1-line block ×3, first 2 shown]
	ds_write_b64 v110, v[61:62] offset:15552
	s_waitcnt lgkmcnt(0)
	s_barrier
	buffer_gl0_inv
	global_load_dwordx4 v[60:63], v[65:66], off offset:1712
	v_add_co_u32 v64, vcc_lo, 0x1000, v124
	v_add_co_ci_u32_e32 v65, vcc_lo, 0, v125, vcc_lo
	s_clause 0x1
	global_load_dwordx4 v[56:59], v[122:123], off offset:1712
	global_load_dwordx4 v[64:67], v[64:65], off offset:1712
	ds_read2_b64 v[112:115], v91 offset0:2 offset1:245
	ds_read2_b64 v[116:119], v89 offset0:12 offset1:255
	ds_read2_b64 v[120:123], v92 offset0:6 offset1:249
	ds_read_b64 v[128:129], v87 offset:15552
	ds_read2_b64 v[124:127], v87 offset1:243
	s_waitcnt vmcnt(2) lgkmcnt(4)
	v_mul_f32_e32 v131, v112, v63
	v_mul_f32_e32 v130, v113, v63
	s_waitcnt lgkmcnt(2)
	v_mul_f32_e32 v138, v123, v61
	v_fmac_f32_e32 v131, v113, v62
	s_waitcnt vmcnt(1)
	v_mul_f32_e32 v132, v115, v59
	v_mul_f32_e32 v133, v114, v59
	;; [unrolled: 1-line block ×5, first 2 shown]
	s_waitcnt vmcnt(0)
	v_mul_f32_e32 v136, v119, v65
	v_mul_f32_e32 v137, v118, v65
	v_fma_f32 v112, v112, v62, -v130
	v_fma_f32 v114, v114, v58, -v132
	v_fmac_f32_e32 v133, v115, v58
	s_waitcnt lgkmcnt(1)
	v_mul_f32_e32 v115, v129, v67
	v_mul_f32_e32 v132, v128, v67
	v_fma_f32 v116, v116, v56, -v134
	v_fmac_f32_e32 v135, v117, v56
	v_fmac_f32_e32 v113, v123, v60
	v_fma_f32 v117, v122, v60, -v138
	v_fma_f32 v118, v118, v64, -v136
	v_fmac_f32_e32 v137, v119, v64
	v_fma_f32 v130, v128, v66, -v115
	v_fmac_f32_e32 v132, v129, v66
	s_waitcnt lgkmcnt(0)
	v_add_f32_e32 v115, v125, v113
	v_add_f32_e32 v119, v113, v131
	;; [unrolled: 1-line block ×4, first 2 shown]
	v_sub_f32_e32 v129, v117, v112
	v_add_f32_e32 v117, v126, v116
	v_sub_f32_e32 v122, v113, v131
	v_add_f32_e32 v134, v127, v135
	;; [unrolled: 2-line block ×3, first 2 shown]
	v_add_f32_e32 v113, v115, v131
	v_add_f32_e32 v112, v123, v112
	v_add_f32_e32 v123, v116, v114
	v_sub_f32_e32 v131, v116, v114
	v_add_f32_e32 v138, v118, v130
	v_add_f32_e32 v114, v117, v114
	v_fma_f32 v117, -0.5, v119, v125
	v_add_f32_e32 v119, v137, v132
	v_fma_f32 v116, -0.5, v128, v124
	v_add_f32_e32 v115, v134, v133
	v_add_f32_e32 v133, v120, v118
	v_fma_f32 v126, -0.5, v123, v126
	v_add_f32_e32 v134, v121, v137
	v_sub_f32_e32 v125, v137, v132
	v_sub_f32_e32 v137, v118, v130
	v_fmac_f32_e32 v127, -0.5, v135
	v_fma_f32 v120, -0.5, v138, v120
	v_fmac_f32_e32 v121, -0.5, v119
	v_add_co_u32 v128, vcc_lo, 0x4000, v93
	v_fmamk_f32 v118, v122, 0x3f5db3d7, v116
	v_fmamk_f32 v119, v129, 0xbf5db3d7, v117
	v_fmac_f32_e32 v117, 0x3f5db3d7, v129
	v_add_co_ci_u32_e32 v129, vcc_lo, 0, v94, vcc_lo
	v_fmac_f32_e32 v116, 0xbf5db3d7, v122
	v_fmamk_f32 v122, v136, 0x3f5db3d7, v126
	v_fmac_f32_e32 v126, 0xbf5db3d7, v136
	v_fmamk_f32 v123, v131, 0xbf5db3d7, v127
	;; [unrolled: 2-line block ×4, first 2 shown]
	v_fmac_f32_e32 v121, 0x3f5db3d7, v137
	v_add_f32_e32 v130, v133, v130
	v_add_f32_e32 v131, v134, v132
	ds_write_b64 v87, v[118:119] offset:5832
	ds_write_b64 v87, v[116:117] offset:11664
	ds_write2_b64 v87, v[112:113], v[114:115] offset1:243
	ds_write2_b64 v90, v[126:127], v[120:121] offset0:5 offset1:248
	ds_write2_b64 v89, v[122:123], v[124:125] offset0:12 offset1:255
	ds_write_b64 v87, v[130:131] offset:3888
	s_waitcnt lgkmcnt(0)
	s_barrier
	buffer_gl0_inv
	global_load_dwordx2 v[116:117], v[128:129], off offset:1112
	v_add_co_u32 v112, vcc_lo, 0x5800, v93
	v_add_co_ci_u32_e32 v113, vcc_lo, 0, v94, vcc_lo
	v_add_co_u32 v114, vcc_lo, 0x4458, v93
	v_add_co_ci_u32_e32 v115, vcc_lo, 0, v94, vcc_lo
	s_clause 0x1
	global_load_dwordx2 v[120:121], v[112:113], off offset:800
	global_load_dwordx2 v[122:123], v[114:115], off offset:1944
	v_add_co_u32 v112, vcc_lo, 0x5000, v93
	v_add_co_ci_u32_e32 v113, vcc_lo, 0, v94, vcc_lo
	global_load_dwordx2 v[124:125], v[112:113], off offset:904
	v_add_co_u32 v112, vcc_lo, 0x8000, v93
	v_add_co_ci_u32_e32 v113, vcc_lo, 0, v94, vcc_lo
	v_add_co_u32 v114, vcc_lo, 0x6800, v93
	v_add_co_ci_u32_e32 v115, vcc_lo, 0, v94, vcc_lo
	global_load_dwordx2 v[126:127], v[112:113], off offset:280
	v_add_co_u32 v112, vcc_lo, 0x6000, v93
	v_add_co_ci_u32_e32 v113, vcc_lo, 0, v94, vcc_lo
	s_clause 0x1
	global_load_dwordx2 v[128:129], v[114:115], off offset:592
	global_load_dwordx2 v[130:131], v[112:113], off offset:696
	v_add_co_u32 v112, vcc_lo, 0x7000, v93
	v_add_co_ci_u32_e32 v113, vcc_lo, 0, v94, vcc_lo
	v_add_co_u32 v93, vcc_lo, 0x7800, v93
	v_add_co_ci_u32_e32 v94, vcc_lo, 0, v94, vcc_lo
	s_clause 0x1
	global_load_dwordx2 v[132:133], v[112:113], off offset:488
	global_load_dwordx2 v[93:94], v[93:94], off offset:384
	ds_read2_b64 v[112:115], v87 offset1:243
	ds_read_b64 v[136:137], v87 offset:15552
	s_waitcnt vmcnt(8) lgkmcnt(1)
	v_mul_f32_e32 v119, v113, v117
	v_mul_f32_e32 v118, v112, v117
	v_fma_f32 v117, v112, v116, -v119
	v_fmac_f32_e32 v118, v113, v116
	ds_write_b64 v87, v[117:118]
	ds_read2_b64 v[116:119], v92 offset0:6 offset1:249
	s_waitcnt vmcnt(6)
	v_mul_f32_e32 v112, v115, v123
	v_mul_f32_e32 v135, v114, v123
	v_fma_f32 v134, v114, v122, -v112
	v_fmac_f32_e32 v135, v115, v122
	ds_read2_b64 v[112:115], v89 offset0:12 offset1:255
	s_waitcnt lgkmcnt(1)
	v_mul_f32_e32 v123, v119, v121
	v_mul_f32_e32 v122, v118, v121
	s_waitcnt vmcnt(5)
	v_mul_f32_e32 v139, v116, v125
	v_fma_f32 v121, v118, v120, -v123
	v_mul_f32_e32 v118, v117, v125
	v_fmac_f32_e32 v122, v119, v120
	v_fmac_f32_e32 v139, v117, v124
	s_waitcnt vmcnt(4)
	v_mul_f32_e32 v120, v137, v127
	v_fma_f32 v138, v116, v124, -v118
	ds_read2_b64 v[116:119], v91 offset0:2 offset1:245
	v_mul_f32_e32 v124, v136, v127
	v_fma_f32 v123, v136, v126, -v120
	s_waitcnt vmcnt(2) lgkmcnt(1)
	v_mul_f32_e32 v120, v113, v131
	v_mul_f32_e32 v127, v115, v129
	v_fmac_f32_e32 v124, v137, v126
	v_mul_f32_e32 v126, v112, v131
	v_mul_f32_e32 v131, v114, v129
	v_fma_f32 v125, v112, v130, -v120
	v_add_nc_u32_e32 v120, 0x1680, v87
	v_add_nc_u32_e32 v129, 0x780, v87
	v_fmac_f32_e32 v126, v113, v130
	v_fma_f32 v130, v114, v128, -v127
	v_fmac_f32_e32 v131, v115, v128
	s_waitcnt vmcnt(1) lgkmcnt(0)
	v_mul_f32_e32 v112, v117, v133
	v_mul_f32_e32 v113, v116, v133
	s_waitcnt vmcnt(0)
	v_mul_f32_e32 v114, v119, v94
	v_mul_f32_e32 v115, v118, v94
	v_add_nc_u32_e32 v94, 0x25c0, v87
	v_fma_f32 v112, v116, v132, -v112
	v_fmac_f32_e32 v113, v117, v132
	v_fma_f32 v114, v118, v93, -v114
	v_fmac_f32_e32 v115, v119, v93
	ds_write2_b64 v120, v[121:122], v[125:126] offset0:9 offset1:252
	ds_write2_b64 v129, v[134:135], v[138:139] offset0:3 offset1:246
	;; [unrolled: 1-line block ×4, first 2 shown]
	s_waitcnt lgkmcnt(0)
	s_barrier
	buffer_gl0_inv
	ds_read2_b64 v[112:115], v87 offset1:243
	ds_read2_b64 v[116:119], v92 offset0:6 offset1:249
	ds_read2_b64 v[120:123], v91 offset0:2 offset1:245
	;; [unrolled: 1-line block ×3, first 2 shown]
	ds_read_b64 v[93:94], v87 offset:15552
	s_waitcnt lgkmcnt(0)
	s_barrier
	buffer_gl0_inv
	v_add_f32_e32 v129, v113, v119
	v_add_f32_e32 v128, v112, v118
	;; [unrolled: 1-line block ×6, first 2 shown]
	v_sub_f32_e32 v132, v119, v121
	v_add_f32_e32 v136, v124, v122
	v_sub_f32_e32 v137, v125, v123
	v_add_f32_e32 v119, v129, v121
	v_add_f32_e32 v121, v135, v123
	;; [unrolled: 1-line block ×3, first 2 shown]
	v_sub_f32_e32 v133, v118, v120
	v_add_f32_e32 v118, v128, v120
	v_sub_f32_e32 v128, v124, v122
	v_add_f32_e32 v124, v126, v93
	v_add_f32_e32 v125, v117, v127
	v_sub_f32_e32 v129, v127, v94
	v_add_f32_e32 v127, v127, v94
	v_add_f32_e32 v120, v134, v122
	;; [unrolled: 1-line block ×3, first 2 shown]
	v_fma_f32 v112, -0.5, v130, v112
	v_fma_f32 v113, -0.5, v131, v113
	;; [unrolled: 1-line block ×3, first 2 shown]
	v_fmac_f32_e32 v115, -0.5, v123
	v_sub_f32_e32 v134, v126, v93
	v_fma_f32 v116, -0.5, v124, v116
	v_fmac_f32_e32 v117, -0.5, v127
	v_add_f32_e32 v93, v122, v93
	v_fmamk_f32 v122, v132, 0xbf5db3d7, v112
	v_fmamk_f32 v123, v133, 0x3f5db3d7, v113
	v_fmac_f32_e32 v112, 0x3f5db3d7, v132
	v_fmac_f32_e32 v113, 0xbf5db3d7, v133
	v_add_f32_e32 v94, v125, v94
	v_fmamk_f32 v124, v137, 0xbf5db3d7, v114
	v_fmamk_f32 v125, v128, 0x3f5db3d7, v115
	v_fmac_f32_e32 v114, 0x3f5db3d7, v137
	v_fmac_f32_e32 v115, 0xbf5db3d7, v128
	v_fmamk_f32 v126, v129, 0xbf5db3d7, v116
	v_fmac_f32_e32 v116, 0x3f5db3d7, v129
	v_fmamk_f32 v127, v134, 0x3f5db3d7, v117
	v_fmac_f32_e32 v117, 0xbf5db3d7, v134
	ds_write2_b64 v95, v[118:119], v[122:123] offset1:1
	ds_write_b64 v95, v[112:113] offset:16
	ds_write2_b64 v96, v[120:121], v[124:125] offset1:1
	ds_write_b64 v96, v[114:115] offset:16
	ds_write2_b64 v97, v[93:94], v[126:127] offset1:1
	ds_write_b64 v97, v[116:117] offset:16
	s_waitcnt lgkmcnt(0)
	s_barrier
	buffer_gl0_inv
	ds_read_b64 v[124:125], v87 offset:15552
	ds_read2_b64 v[93:96], v89 offset0:12 offset1:255
	ds_read2_b64 v[112:115], v91 offset0:2 offset1:245
	;; [unrolled: 1-line block ×3, first 2 shown]
	ds_read2_b64 v[120:123], v87 offset1:243
	s_waitcnt lgkmcnt(0)
	s_barrier
	buffer_gl0_inv
	v_mul_f32_e32 v97, v23, v125
	v_mul_f32_e32 v127, v17, v94
	;; [unrolled: 1-line block ×12, first 2 shown]
	v_fma_f32 v13, v12, v119, -v13
	v_fma_f32 v15, v14, v113, -v15
	v_fmac_f32_e32 v130, v12, v118
	v_fmac_f32_e32 v129, v14, v112
	;; [unrolled: 1-line block ×3, first 2 shown]
	v_fma_f32 v16, v16, v94, -v17
	v_fmac_f32_e32 v128, v18, v114
	v_fma_f32 v17, v18, v115, -v19
	v_fmac_f32_e32 v97, v22, v124
	;; [unrolled: 2-line block ×3, first 2 shown]
	v_fma_f32 v20, v20, v96, -v21
	v_add_f32_e32 v12, v121, v13
	v_add_f32_e32 v18, v13, v15
	;; [unrolled: 1-line block ×7, first 2 shown]
	v_sub_f32_e32 v114, v20, v22
	v_add_f32_e32 v20, v20, v22
	v_add_f32_e32 v118, v126, v97
	v_sub_f32_e32 v23, v13, v15
	v_sub_f32_e32 v93, v130, v129
	v_add_f32_e32 v21, v123, v16
	v_add_f32_e32 v13, v12, v15
	;; [unrolled: 1-line block ×3, first 2 shown]
	v_fma_f32 v14, -0.5, v19, v120
	v_fma_f32 v15, -0.5, v18, v121
	v_sub_f32_e32 v94, v16, v17
	v_add_f32_e32 v16, v122, v127
	v_sub_f32_e32 v112, v127, v128
	v_fma_f32 v122, -0.5, v96, v122
	v_fmac_f32_e32 v123, -0.5, v95
	v_add_f32_e32 v115, v116, v126
	v_sub_f32_e32 v119, v126, v97
	v_fma_f32 v116, -0.5, v118, v116
	v_fmac_f32_e32 v117, -0.5, v20
	v_add_f32_e32 v17, v21, v17
	v_fmamk_f32 v20, v23, 0xbf5db3d7, v14
	v_fmamk_f32 v21, v93, 0x3f5db3d7, v15
	v_fmac_f32_e32 v14, 0x3f5db3d7, v23
	v_fmac_f32_e32 v15, 0xbf5db3d7, v93
	v_add_f32_e32 v16, v16, v128
	v_add_f32_e32 v19, v113, v22
	v_fmamk_f32 v22, v94, 0xbf5db3d7, v122
	v_fmamk_f32 v23, v112, 0x3f5db3d7, v123
	v_fmac_f32_e32 v122, 0x3f5db3d7, v94
	v_fmac_f32_e32 v123, 0xbf5db3d7, v112
	v_add_f32_e32 v18, v115, v97
	v_fmamk_f32 v93, v114, 0xbf5db3d7, v116
	v_fmamk_f32 v94, v119, 0x3f5db3d7, v117
	v_fmac_f32_e32 v116, 0x3f5db3d7, v114
	v_fmac_f32_e32 v117, 0xbf5db3d7, v119
	ds_write2_b64 v98, v[12:13], v[20:21] offset1:3
	ds_write_b64 v98, v[14:15] offset:48
	ds_write2_b64 v99, v[16:17], v[22:23] offset1:3
	ds_write_b64 v99, v[122:123] offset:48
	;; [unrolled: 2-line block ×3, first 2 shown]
	s_waitcnt lgkmcnt(0)
	s_barrier
	buffer_gl0_inv
	ds_read_b64 v[97:98], v87 offset:15552
	ds_read2_b64 v[12:15], v89 offset0:12 offset1:255
	ds_read2_b64 v[16:19], v91 offset0:2 offset1:245
	;; [unrolled: 1-line block ×3, first 2 shown]
	ds_read2_b64 v[93:96], v87 offset1:243
	s_waitcnt lgkmcnt(0)
	s_barrier
	buffer_gl0_inv
	v_mul_f32_e32 v99, v35, v98
	v_mul_f32_e32 v100, v33, v15
	;; [unrolled: 1-line block ×12, first 2 shown]
	v_fmac_f32_e32 v100, v32, v14
	v_fma_f32 v14, v32, v15, -v33
	v_fmac_f32_e32 v112, v28, v12
	v_fma_f32 v12, v28, v13, -v29
	v_fma_f32 v13, v24, v23, -v115
	;; [unrolled: 1-line block ×3, first 2 shown]
	v_fmac_f32_e32 v25, v24, v22
	v_fmac_f32_e32 v114, v26, v16
	;; [unrolled: 1-line block ×3, first 2 shown]
	v_fma_f32 v17, v30, v19, -v31
	v_fmac_f32_e32 v99, v34, v97
	v_fma_f32 v34, v34, v98, -v35
	v_add_f32_e32 v16, v94, v13
	v_add_f32_e32 v18, v13, v15
	;; [unrolled: 1-line block ×7, first 2 shown]
	v_sub_f32_e32 v24, v13, v15
	v_add_f32_e32 v19, v93, v25
	v_sub_f32_e32 v25, v25, v114
	v_add_f32_e32 v23, v96, v12
	v_add_f32_e32 v31, v21, v14
	v_sub_f32_e32 v32, v14, v34
	v_add_f32_e32 v13, v16, v15
	v_fma_f32 v14, -0.5, v22, v93
	v_fma_f32 v15, -0.5, v18, v94
	v_sub_f32_e32 v26, v12, v17
	v_add_f32_e32 v28, v95, v112
	v_sub_f32_e32 v30, v112, v113
	v_fma_f32 v95, -0.5, v29, v95
	v_fmac_f32_e32 v96, -0.5, v27
	v_add_f32_e32 v35, v20, v100
	v_sub_f32_e32 v98, v100, v99
	v_fma_f32 v20, -0.5, v97, v20
	v_fmac_f32_e32 v21, -0.5, v33
	v_add_f32_e32 v12, v19, v114
	v_add_f32_e32 v17, v23, v17
	v_fmamk_f32 v22, v24, 0xbf5db3d7, v14
	v_fmamk_f32 v23, v25, 0x3f5db3d7, v15
	v_fmac_f32_e32 v14, 0x3f5db3d7, v24
	v_fmac_f32_e32 v15, 0xbf5db3d7, v25
	v_add_f32_e32 v16, v28, v113
	v_fmamk_f32 v24, v26, 0xbf5db3d7, v95
	v_fmamk_f32 v25, v30, 0x3f5db3d7, v96
	v_fmac_f32_e32 v95, 0x3f5db3d7, v26
	v_fmac_f32_e32 v96, 0xbf5db3d7, v30
	v_add_f32_e32 v19, v31, v34
	v_add_f32_e32 v18, v35, v99
	v_fmamk_f32 v26, v32, 0xbf5db3d7, v20
	v_fmamk_f32 v27, v98, 0x3f5db3d7, v21
	v_fmac_f32_e32 v20, 0x3f5db3d7, v32
	v_fmac_f32_e32 v21, 0xbf5db3d7, v98
	ds_write2_b64 v104, v[12:13], v[22:23] offset1:9
	ds_write_b64 v104, v[14:15] offset:144
	ds_write2_b64 v105, v[16:17], v[24:25] offset1:9
	ds_write_b64 v105, v[95:96] offset:144
	;; [unrolled: 2-line block ×3, first 2 shown]
	s_waitcnt lgkmcnt(0)
	s_barrier
	buffer_gl0_inv
	ds_read_b64 v[28:29], v87 offset:15552
	ds_read2_b64 v[12:15], v89 offset0:12 offset1:255
	ds_read2_b64 v[16:19], v91 offset0:2 offset1:245
	;; [unrolled: 1-line block ×3, first 2 shown]
	ds_read2_b64 v[24:27], v87 offset1:243
	s_waitcnt lgkmcnt(0)
	s_barrier
	buffer_gl0_inv
	v_mul_f32_e32 v30, v47, v29
	v_mul_f32_e32 v31, v47, v28
	;; [unrolled: 1-line block ×12, first 2 shown]
	v_fmac_f32_e32 v32, v44, v14
	v_fma_f32 v14, v44, v15, -v33
	v_fmac_f32_e32 v34, v40, v12
	v_fma_f32 v12, v40, v13, -v35
	v_fma_f32 v13, v36, v23, -v37
	;; [unrolled: 1-line block ×3, first 2 shown]
	v_fmac_f32_e32 v47, v36, v22
	v_fmac_f32_e32 v45, v38, v16
	;; [unrolled: 1-line block ×3, first 2 shown]
	v_fma_f32 v17, v42, v19, -v43
	v_fmac_f32_e32 v30, v46, v28
	v_fma_f32 v28, v46, v29, -v31
	v_add_f32_e32 v16, v25, v13
	v_add_f32_e32 v18, v13, v15
	;; [unrolled: 1-line block ×7, first 2 shown]
	v_sub_f32_e32 v29, v13, v15
	v_add_f32_e32 v19, v24, v47
	v_sub_f32_e32 v31, v47, v45
	v_add_f32_e32 v23, v27, v12
	v_add_f32_e32 v38, v21, v14
	v_sub_f32_e32 v39, v14, v28
	v_add_f32_e32 v13, v16, v15
	v_fma_f32 v14, -0.5, v22, v24
	v_fma_f32 v15, -0.5, v18, v25
	v_sub_f32_e32 v33, v12, v17
	v_add_f32_e32 v36, v26, v34
	v_sub_f32_e32 v34, v34, v41
	v_fma_f32 v26, -0.5, v37, v26
	v_fmac_f32_e32 v27, -0.5, v35
	v_add_f32_e32 v42, v20, v32
	v_sub_f32_e32 v32, v32, v30
	v_fma_f32 v20, -0.5, v43, v20
	v_fmac_f32_e32 v21, -0.5, v40
	v_add_f32_e32 v12, v19, v45
	v_add_f32_e32 v17, v23, v17
	v_fmamk_f32 v22, v29, 0xbf5db3d7, v14
	v_fmamk_f32 v23, v31, 0x3f5db3d7, v15
	v_fmac_f32_e32 v14, 0x3f5db3d7, v29
	v_fmac_f32_e32 v15, 0xbf5db3d7, v31
	v_add_f32_e32 v16, v36, v41
	v_fmamk_f32 v24, v33, 0xbf5db3d7, v26
	v_fmamk_f32 v25, v34, 0x3f5db3d7, v27
	v_fmac_f32_e32 v26, 0x3f5db3d7, v33
	v_fmac_f32_e32 v27, 0xbf5db3d7, v34
	v_add_f32_e32 v19, v38, v28
	v_add_f32_e32 v18, v42, v30
	v_fmamk_f32 v28, v39, 0xbf5db3d7, v20
	v_fmamk_f32 v29, v32, 0x3f5db3d7, v21
	v_fmac_f32_e32 v20, 0x3f5db3d7, v39
	v_fmac_f32_e32 v21, 0xbf5db3d7, v32
	ds_write2_b64 v107, v[12:13], v[22:23] offset1:27
	ds_write_b64 v107, v[14:15] offset:432
	ds_write2_b64 v109, v[16:17], v[24:25] offset1:27
	ds_write_b64 v109, v[26:27] offset:432
	;; [unrolled: 2-line block ×3, first 2 shown]
	s_waitcnt lgkmcnt(0)
	s_barrier
	buffer_gl0_inv
	ds_read_b64 v[12:13], v87 offset:15552
	ds_read2_b64 v[14:17], v89 offset0:12 offset1:255
	ds_read2_b64 v[18:21], v91 offset0:2 offset1:245
	;; [unrolled: 1-line block ×3, first 2 shown]
	ds_read2_b64 v[26:29], v87 offset1:243
	v_mad_u64_u32 v[30:31], null, s2, v86, 0
	v_mad_u64_u32 v[32:33], null, s0, v88, 0
	s_waitcnt lgkmcnt(0)
	s_barrier
	buffer_gl0_inv
	v_mul_f32_e32 v34, v11, v13
	v_mul_f32_e32 v36, v5, v15
	;; [unrolled: 1-line block ×12, first 2 shown]
	v_fma_f32 v1, v0, v25, -v1
	v_fma_f32 v3, v2, v19, -v3
	v_fmac_f32_e32 v39, v0, v24
	v_fmac_f32_e32 v38, v2, v18
	;; [unrolled: 1-line block ×3, first 2 shown]
	v_fma_f32 v4, v4, v15, -v5
	v_fmac_f32_e32 v37, v6, v20
	v_fma_f32 v5, v6, v21, -v7
	v_fmac_f32_e32 v34, v10, v12
	;; [unrolled: 2-line block ×3, first 2 shown]
	v_fma_f32 v8, v8, v17, -v9
	v_add_f32_e32 v0, v27, v1
	v_add_f32_e32 v6, v1, v3
	;; [unrolled: 1-line block ×8, first 2 shown]
	v_sub_f32_e32 v11, v1, v3
	v_sub_f32_e32 v12, v39, v38
	v_add_f32_e32 v9, v29, v4
	v_add_f32_e32 v1, v0, v3
	;; [unrolled: 1-line block ×3, first 2 shown]
	v_fma_f32 v2, -0.5, v7, v26
	v_fma_f32 v3, -0.5, v6, v27
	v_sub_f32_e32 v13, v4, v5
	v_add_f32_e32 v4, v28, v36
	v_sub_f32_e32 v16, v36, v37
	v_add_f32_e32 v20, v23, v8
	v_fma_f32 v28, -0.5, v15, v28
	v_fmac_f32_e32 v29, -0.5, v14
	v_add_f32_e32 v18, v22, v35
	v_sub_f32_e32 v21, v8, v10
	v_sub_f32_e32 v24, v35, v34
	v_fma_f32 v22, -0.5, v17, v22
	v_fmac_f32_e32 v23, -0.5, v19
	v_add_f32_e32 v5, v9, v5
	v_fmamk_f32 v8, v11, 0xbf5db3d7, v2
	v_fmamk_f32 v9, v12, 0x3f5db3d7, v3
	v_fmac_f32_e32 v2, 0x3f5db3d7, v11
	v_fmac_f32_e32 v3, 0xbf5db3d7, v12
	v_add_f32_e32 v4, v4, v37
	v_add_f32_e32 v7, v20, v10
	v_fmamk_f32 v10, v13, 0xbf5db3d7, v28
	v_fmamk_f32 v11, v16, 0x3f5db3d7, v29
	v_fmac_f32_e32 v28, 0x3f5db3d7, v13
	v_fmac_f32_e32 v29, 0xbf5db3d7, v16
	v_add_f32_e32 v6, v18, v34
	v_fmamk_f32 v12, v21, 0xbf5db3d7, v22
	v_fmamk_f32 v13, v24, 0x3f5db3d7, v23
	v_fmac_f32_e32 v22, 0x3f5db3d7, v21
	v_fmac_f32_e32 v23, 0xbf5db3d7, v24
	ds_write2_b64 v103, v[0:1], v[8:9] offset1:81
	ds_write_b64 v103, v[2:3] offset:1296
	ds_write2_b64 v102, v[4:5], v[10:11] offset1:81
	ds_write_b64 v102, v[28:29] offset:1296
	;; [unrolled: 2-line block ×3, first 2 shown]
	v_mad_u64_u32 v[8:9], null, s3, v86, v[31:32]
	s_waitcnt lgkmcnt(0)
	s_barrier
	buffer_gl0_inv
	ds_read2_b64 v[0:3], v91 offset0:2 offset1:245
	ds_read2_b64 v[4:7], v89 offset0:12 offset1:255
	v_mad_u64_u32 v[12:13], null, s1, v88, v[33:34]
	v_mov_b32_e32 v31, v8
	ds_read2_b64 v[8:11], v92 offset0:6 offset1:249
	ds_read_b64 v[16:17], v87 offset:15552
	s_load_dwordx2 s[2:3], s[4:5], 0x38
	s_mul_i32 s5, s1, 0x16c8
	v_lshlrev_b64 v[18:19], 3, v[30:31]
	v_mov_b32_e32 v33, v12
	ds_read2_b64 v[12:15], v87 offset1:243
	s_waitcnt lgkmcnt(0)
	s_barrier
	buffer_gl0_inv
	s_mul_i32 s4, s0, 0x16c8
	s_add_i32 s5, s6, s5
	s_mulk_i32 s1, 0xda08
	s_sub_i32 s1, s1, s0
	v_mul_f32_e32 v20, v51, v1
	v_mul_f32_e32 v21, v51, v0
	;; [unrolled: 1-line block ×12, first 2 shown]
	v_fmac_f32_e32 v20, v50, v0
	v_fma_f32 v0, v50, v1, -v21
	v_fmac_f32_e32 v22, v50, v2
	v_fma_f32 v2, v48, v11, -v31
	;; [unrolled: 2-line block ×6, first 2 shown]
	v_add_f32_e32 v4, v13, v2
	v_sub_f32_e32 v16, v2, v0
	v_add_f32_e32 v5, v2, v0
	v_add_f32_e32 v2, v12, v30
	;; [unrolled: 1-line block ×5, first 2 shown]
	v_sub_f32_e32 v17, v30, v20
	v_add_f32_e32 v30, v26, v28
	v_add_f32_e32 v35, v3, v7
	;; [unrolled: 1-line block ×4, first 2 shown]
	v_sub_f32_e32 v25, v1, v21
	v_add_f32_e32 v31, v9, v3
	v_sub_f32_e32 v34, v3, v7
	v_add_f32_e32 v1, v4, v0
	v_add_f32_e32 v0, v2, v20
	v_fma_f32 v2, -0.5, v6, v12
	v_fma_f32 v3, -0.5, v5, v13
	v_sub_f32_e32 v24, v24, v22
	v_fma_f32 v14, -0.5, v23, v14
	v_fmac_f32_e32 v15, -0.5, v27
	v_add_f32_e32 v29, v8, v26
	v_sub_f32_e32 v26, v26, v28
	v_fma_f32 v8, -0.5, v30, v8
	v_fmac_f32_e32 v9, -0.5, v35
	v_add_f32_e32 v4, v10, v22
	v_add_f32_e32 v5, v11, v21
	v_fmamk_f32 v10, v16, 0xbf5db3d7, v2
	v_fmamk_f32 v11, v17, 0x3f5db3d7, v3
	v_fmac_f32_e32 v2, 0x3f5db3d7, v16
	v_fmac_f32_e32 v3, 0xbf5db3d7, v17
	v_fmamk_f32 v12, v25, 0xbf5db3d7, v14
	v_fmac_f32_e32 v14, 0x3f5db3d7, v25
	v_fmamk_f32 v13, v24, 0x3f5db3d7, v15
	v_fmac_f32_e32 v15, 0xbf5db3d7, v24
	v_add_f32_e32 v6, v29, v28
	v_add_f32_e32 v7, v31, v7
	v_fmamk_f32 v16, v34, 0xbf5db3d7, v8
	v_fmamk_f32 v17, v26, 0x3f5db3d7, v9
	v_fmac_f32_e32 v8, 0x3f5db3d7, v34
	v_fmac_f32_e32 v9, 0xbf5db3d7, v26
	ds_write2_b64 v87, v[0:1], v[10:11] offset1:243
	ds_write2_b64 v92, v[2:3], v[4:5] offset0:6 offset1:249
	ds_write2_b64 v89, v[12:13], v[14:15] offset0:12 offset1:255
	;; [unrolled: 1-line block ×3, first 2 shown]
	ds_write_b64 v110, v[8:9] offset:15552
	s_waitcnt lgkmcnt(0)
	s_barrier
	buffer_gl0_inv
	ds_read2_b64 v[0:3], v92 offset0:6 offset1:249
	ds_read2_b64 v[4:7], v91 offset0:2 offset1:245
	;; [unrolled: 1-line block ×3, first 2 shown]
	ds_read_b64 v[16:17], v87 offset:15552
	v_lshlrev_b64 v[12:13], 3, v[32:33]
	v_add_co_u32 v14, vcc_lo, s2, v18
	v_add_co_ci_u32_e32 v15, vcc_lo, s3, v19, vcc_lo
	s_mov_b32 s2, 0x80feb65f
	v_add_co_u32 v18, vcc_lo, v14, v12
	v_add_co_ci_u32_e32 v19, vcc_lo, v15, v13, vcc_lo
	ds_read2_b64 v[12:15], v87 offset1:243
	v_add_co_u32 v20, vcc_lo, v18, s4
	v_add_co_ci_u32_e32 v21, vcc_lo, s5, v19, vcc_lo
	s_mov_b32 s3, 0x3f3df756
	s_waitcnt lgkmcnt(4)
	v_mul_f32_e32 v22, v61, v3
	v_mul_f32_e32 v23, v61, v2
	s_waitcnt lgkmcnt(3)
	v_mul_f32_e32 v24, v63, v5
	v_mul_f32_e32 v25, v63, v4
	v_mul_f32_e32 v26, v59, v7
	v_mul_f32_e32 v27, v59, v6
	s_waitcnt lgkmcnt(2)
	v_mul_f32_e32 v28, v57, v9
	v_mul_f32_e32 v29, v57, v8
	;; [unrolled: 5-line block ×3, first 2 shown]
	v_fmac_f32_e32 v22, v60, v2
	v_fma_f32 v2, v60, v3, -v23
	v_fmac_f32_e32 v24, v62, v4
	v_fma_f32 v3, v62, v5, -v25
	;; [unrolled: 2-line block ×6, first 2 shown]
	v_add_f32_e32 v8, v22, v24
	v_add_f32_e32 v16, v2, v3
	;; [unrolled: 1-line block ×6, first 2 shown]
	v_sub_f32_e32 v11, v2, v3
	s_waitcnt lgkmcnt(0)
	v_add_f32_e32 v10, v13, v2
	v_sub_f32_e32 v17, v22, v24
	v_sub_f32_e32 v25, v4, v7
	v_add_f32_e32 v27, v15, v4
	v_sub_f32_e32 v34, v5, v9
	v_add_f32_e32 v35, v1, v5
	v_fma_f32 v4, -0.5, v8, v12
	v_fma_f32 v5, -0.5, v16, v13
	v_add_f32_e32 v6, v12, v22
	v_add_f32_e32 v22, v14, v28
	;; [unrolled: 1-line block ×3, first 2 shown]
	v_sub_f32_e32 v28, v28, v26
	v_sub_f32_e32 v30, v30, v32
	v_fma_f32 v14, -0.5, v23, v14
	v_fmac_f32_e32 v15, -0.5, v29
	v_fma_f32 v0, -0.5, v33, v0
	v_fmac_f32_e32 v1, -0.5, v36
	v_add_f32_e32 v3, v10, v3
	v_fmamk_f32 v10, v11, 0xbf5db3d7, v4
	v_fmac_f32_e32 v4, 0x3f5db3d7, v11
	v_fmamk_f32 v11, v17, 0x3f5db3d7, v5
	v_fmac_f32_e32 v5, 0xbf5db3d7, v17
	v_add_f32_e32 v2, v6, v24
	v_add_f32_e32 v6, v22, v26
	;; [unrolled: 1-line block ×5, first 2 shown]
	v_fmamk_f32 v12, v25, 0xbf5db3d7, v14
	v_fmamk_f32 v13, v28, 0x3f5db3d7, v15
	;; [unrolled: 1-line block ×3, first 2 shown]
	v_fmac_f32_e32 v0, 0x3f5db3d7, v34
	v_fmamk_f32 v17, v30, 0x3f5db3d7, v1
	v_fmac_f32_e32 v1, 0xbf5db3d7, v30
	v_fmac_f32_e32 v14, 0x3f5db3d7, v25
	;; [unrolled: 1-line block ×3, first 2 shown]
	ds_write_b64 v87, v[10:11] offset:5832
	ds_write_b64 v87, v[4:5] offset:11664
	ds_write2_b64 v87, v[2:3], v[6:7] offset1:243
	ds_write_b64 v87, v[8:9] offset:3888
	ds_write2_b64 v89, v[12:13], v[16:17] offset0:12 offset1:255
	ds_write2_b64 v90, v[14:15], v[0:1] offset0:5 offset1:248
	s_waitcnt lgkmcnt(0)
	s_barrier
	buffer_gl0_inv
	ds_read2_b64 v[0:3], v87 offset1:243
	ds_read2_b64 v[4:7], v92 offset0:6 offset1:249
	ds_read2_b64 v[8:11], v91 offset0:2 offset1:245
	;; [unrolled: 1-line block ×3, first 2 shown]
	ds_read_b64 v[24:25], v87 offset:15552
	v_add_co_u32 v16, vcc_lo, v20, s4
	v_add_co_ci_u32_e32 v17, vcc_lo, s5, v21, vcc_lo
	v_mad_u64_u32 v[22:23], null, 0xffffda08, s0, v[16:17]
	v_add_nc_u32_e32 v23, s1, v23
	s_waitcnt lgkmcnt(4)
	v_mul_f32_e32 v28, v71, v1
	v_mul_f32_e32 v29, v71, v0
	s_waitcnt lgkmcnt(3)
	v_mul_f32_e32 v30, v73, v7
	v_mul_f32_e32 v31, v73, v6
	;; [unrolled: 3-line block ×3, first 2 shown]
	v_mul_f32_e32 v34, v69, v3
	v_mul_f32_e32 v35, v69, v2
	s_waitcnt lgkmcnt(1)
	v_mul_f32_e32 v36, v81, v13
	v_mul_f32_e32 v37, v81, v12
	;; [unrolled: 1-line block ×4, first 2 shown]
	v_fmac_f32_e32 v28, v70, v0
	v_fma_f32 v29, v70, v1, -v29
	v_mul_f32_e32 v40, v77, v5
	v_mul_f32_e32 v41, v77, v4
	v_fmac_f32_e32 v30, v72, v6
	v_fma_f32 v6, v72, v7, -v31
	v_mul_f32_e32 v42, v83, v15
	v_mul_f32_e32 v43, v83, v14
	v_fmac_f32_e32 v32, v74, v8
	v_fma_f32 v31, v74, v9, -v33
	s_waitcnt lgkmcnt(0)
	v_mul_f32_e32 v44, v85, v25
	v_mul_f32_e32 v45, v85, v24
	v_fmac_f32_e32 v34, v68, v2
	v_fma_f32 v33, v68, v3, -v35
	v_fmac_f32_e32 v36, v80, v12
	v_fma_f32 v35, v80, v13, -v37
	;; [unrolled: 2-line block ×3, first 2 shown]
	v_cvt_f64_f32_e32 v[0:1], v28
	v_cvt_f64_f32_e32 v[2:3], v29
	v_fmac_f32_e32 v40, v76, v4
	v_fma_f32 v39, v76, v5, -v41
	v_cvt_f64_f32_e32 v[4:5], v30
	v_cvt_f64_f32_e32 v[6:7], v6
	v_fmac_f32_e32 v42, v82, v14
	v_fma_f32 v41, v82, v15, -v43
	;; [unrolled: 4-line block ×3, first 2 shown]
	v_cvt_f64_f32_e32 v[12:13], v34
	v_cvt_f64_f32_e32 v[14:15], v33
	;; [unrolled: 1-line block ×12, first 2 shown]
	v_mul_f64 v[0:1], v[0:1], s[2:3]
	v_mul_f64 v[2:3], v[2:3], s[2:3]
	;; [unrolled: 1-line block ×4, first 2 shown]
	v_add_co_u32 v26, vcc_lo, v22, s4
	v_mul_f64 v[8:9], v[8:9], s[2:3]
	v_mul_f64 v[10:11], v[10:11], s[2:3]
	v_add_co_ci_u32_e32 v27, vcc_lo, s5, v23, vcc_lo
	v_mul_f64 v[12:13], v[12:13], s[2:3]
	v_mul_f64 v[14:15], v[14:15], s[2:3]
	;; [unrolled: 1-line block ×12, first 2 shown]
	v_add_co_u32 v46, vcc_lo, v26, s4
	v_add_co_ci_u32_e32 v47, vcc_lo, s5, v27, vcc_lo
	v_cvt_f32_f64_e32 v0, v[0:1]
	v_cvt_f32_f64_e32 v1, v[2:3]
	;; [unrolled: 1-line block ×8, first 2 shown]
	v_mad_u64_u32 v[48:49], null, 0xffffda08, s0, v[46:47]
	v_cvt_f32_f64_e32 v8, v[24:25]
	v_cvt_f32_f64_e32 v9, v[28:29]
	;; [unrolled: 1-line block ×10, first 2 shown]
	v_add_nc_u32_e32 v49, s1, v49
	v_add_co_u32 v28, vcc_lo, v48, s4
	v_add_co_ci_u32_e32 v29, vcc_lo, s5, v49, vcc_lo
	v_add_co_u32 v30, vcc_lo, v28, s4
	v_add_co_ci_u32_e32 v31, vcc_lo, s5, v29, vcc_lo
	global_store_dwordx2 v[18:19], v[0:1], off
	global_store_dwordx2 v[20:21], v[2:3], off
	;; [unrolled: 1-line block ×9, first 2 shown]
.LBB0_2:
	s_endpgm
	.section	.rodata,"a",@progbits
	.p2align	6, 0x0
	.amdhsa_kernel bluestein_single_fwd_len2187_dim1_sp_op_CI_CI
		.amdhsa_group_segment_fixed_size 17496
		.amdhsa_private_segment_fixed_size 0
		.amdhsa_kernarg_size 104
		.amdhsa_user_sgpr_count 6
		.amdhsa_user_sgpr_private_segment_buffer 1
		.amdhsa_user_sgpr_dispatch_ptr 0
		.amdhsa_user_sgpr_queue_ptr 0
		.amdhsa_user_sgpr_kernarg_segment_ptr 1
		.amdhsa_user_sgpr_dispatch_id 0
		.amdhsa_user_sgpr_flat_scratch_init 0
		.amdhsa_user_sgpr_private_segment_size 0
		.amdhsa_wavefront_size32 1
		.amdhsa_uses_dynamic_stack 0
		.amdhsa_system_sgpr_private_segment_wavefront_offset 0
		.amdhsa_system_sgpr_workgroup_id_x 1
		.amdhsa_system_sgpr_workgroup_id_y 0
		.amdhsa_system_sgpr_workgroup_id_z 0
		.amdhsa_system_sgpr_workgroup_info 0
		.amdhsa_system_vgpr_workitem_id 0
		.amdhsa_next_free_vgpr 140
		.amdhsa_next_free_sgpr 20
		.amdhsa_reserve_vcc 1
		.amdhsa_reserve_flat_scratch 0
		.amdhsa_float_round_mode_32 0
		.amdhsa_float_round_mode_16_64 0
		.amdhsa_float_denorm_mode_32 3
		.amdhsa_float_denorm_mode_16_64 3
		.amdhsa_dx10_clamp 1
		.amdhsa_ieee_mode 1
		.amdhsa_fp16_overflow 0
		.amdhsa_workgroup_processor_mode 1
		.amdhsa_memory_ordered 1
		.amdhsa_forward_progress 0
		.amdhsa_shared_vgpr_count 0
		.amdhsa_exception_fp_ieee_invalid_op 0
		.amdhsa_exception_fp_denorm_src 0
		.amdhsa_exception_fp_ieee_div_zero 0
		.amdhsa_exception_fp_ieee_overflow 0
		.amdhsa_exception_fp_ieee_underflow 0
		.amdhsa_exception_fp_ieee_inexact 0
		.amdhsa_exception_int_div_zero 0
	.end_amdhsa_kernel
	.text
.Lfunc_end0:
	.size	bluestein_single_fwd_len2187_dim1_sp_op_CI_CI, .Lfunc_end0-bluestein_single_fwd_len2187_dim1_sp_op_CI_CI
                                        ; -- End function
	.section	.AMDGPU.csdata,"",@progbits
; Kernel info:
; codeLenInByte = 10140
; NumSgprs: 22
; NumVgprs: 140
; ScratchSize: 0
; MemoryBound: 0
; FloatMode: 240
; IeeeMode: 1
; LDSByteSize: 17496 bytes/workgroup (compile time only)
; SGPRBlocks: 2
; VGPRBlocks: 17
; NumSGPRsForWavesPerEU: 22
; NumVGPRsForWavesPerEU: 140
; Occupancy: 7
; WaveLimiterHint : 1
; COMPUTE_PGM_RSRC2:SCRATCH_EN: 0
; COMPUTE_PGM_RSRC2:USER_SGPR: 6
; COMPUTE_PGM_RSRC2:TRAP_HANDLER: 0
; COMPUTE_PGM_RSRC2:TGID_X_EN: 1
; COMPUTE_PGM_RSRC2:TGID_Y_EN: 0
; COMPUTE_PGM_RSRC2:TGID_Z_EN: 0
; COMPUTE_PGM_RSRC2:TIDIG_COMP_CNT: 0
	.text
	.p2alignl 6, 3214868480
	.fill 48, 4, 3214868480
	.type	__hip_cuid_9cc2b348d931de8b,@object ; @__hip_cuid_9cc2b348d931de8b
	.section	.bss,"aw",@nobits
	.globl	__hip_cuid_9cc2b348d931de8b
__hip_cuid_9cc2b348d931de8b:
	.byte	0                               ; 0x0
	.size	__hip_cuid_9cc2b348d931de8b, 1

	.ident	"AMD clang version 19.0.0git (https://github.com/RadeonOpenCompute/llvm-project roc-6.4.0 25133 c7fe45cf4b819c5991fe208aaa96edf142730f1d)"
	.section	".note.GNU-stack","",@progbits
	.addrsig
	.addrsig_sym __hip_cuid_9cc2b348d931de8b
	.amdgpu_metadata
---
amdhsa.kernels:
  - .args:
      - .actual_access:  read_only
        .address_space:  global
        .offset:         0
        .size:           8
        .value_kind:     global_buffer
      - .actual_access:  read_only
        .address_space:  global
        .offset:         8
        .size:           8
        .value_kind:     global_buffer
      - .actual_access:  read_only
        .address_space:  global
        .offset:         16
        .size:           8
        .value_kind:     global_buffer
      - .actual_access:  read_only
        .address_space:  global
        .offset:         24
        .size:           8
        .value_kind:     global_buffer
      - .actual_access:  read_only
        .address_space:  global
        .offset:         32
        .size:           8
        .value_kind:     global_buffer
      - .offset:         40
        .size:           8
        .value_kind:     by_value
      - .address_space:  global
        .offset:         48
        .size:           8
        .value_kind:     global_buffer
      - .address_space:  global
        .offset:         56
        .size:           8
        .value_kind:     global_buffer
      - .address_space:  global
        .offset:         64
        .size:           8
        .value_kind:     global_buffer
      - .address_space:  global
        .offset:         72
        .size:           8
        .value_kind:     global_buffer
      - .offset:         80
        .size:           4
        .value_kind:     by_value
      - .address_space:  global
        .offset:         88
        .size:           8
        .value_kind:     global_buffer
      - .address_space:  global
        .offset:         96
        .size:           8
        .value_kind:     global_buffer
    .group_segment_fixed_size: 17496
    .kernarg_segment_align: 8
    .kernarg_segment_size: 104
    .language:       OpenCL C
    .language_version:
      - 2
      - 0
    .max_flat_workgroup_size: 243
    .name:           bluestein_single_fwd_len2187_dim1_sp_op_CI_CI
    .private_segment_fixed_size: 0
    .sgpr_count:     22
    .sgpr_spill_count: 0
    .symbol:         bluestein_single_fwd_len2187_dim1_sp_op_CI_CI.kd
    .uniform_work_group_size: 1
    .uses_dynamic_stack: false
    .vgpr_count:     140
    .vgpr_spill_count: 0
    .wavefront_size: 32
    .workgroup_processor_mode: 1
amdhsa.target:   amdgcn-amd-amdhsa--gfx1030
amdhsa.version:
  - 1
  - 2
...

	.end_amdgpu_metadata
